;; amdgpu-corpus repo=ROCm/rocFFT kind=compiled arch=gfx1030 opt=O3
	.text
	.amdgcn_target "amdgcn-amd-amdhsa--gfx1030"
	.amdhsa_code_object_version 6
	.protected	bluestein_single_back_len55_dim1_dp_op_CI_CI ; -- Begin function bluestein_single_back_len55_dim1_dp_op_CI_CI
	.globl	bluestein_single_back_len55_dim1_dp_op_CI_CI
	.p2align	8
	.type	bluestein_single_back_len55_dim1_dp_op_CI_CI,@function
bluestein_single_back_len55_dim1_dp_op_CI_CI: ; @bluestein_single_back_len55_dim1_dp_op_CI_CI
; %bb.0:
	s_load_dwordx4 s[12:15], s[4:5], 0x28
	v_mul_u32_u24_e32 v1, 0x1746, v0
	s_mov_b32 s0, exec_lo
	v_lshrrev_b32_e32 v1, 16, v1
	v_mad_u64_u32 v[104:105], null, s6, 23, v[1:2]
	v_mov_b32_e32 v105, 0
	s_waitcnt lgkmcnt(0)
	v_cmpx_gt_u64_e64 s[12:13], v[104:105]
	s_cbranch_execz .LBB0_10
; %bb.1:
	s_clause 0x1
	s_load_dwordx4 s[0:3], s[4:5], 0x18
	s_load_dwordx4 s[8:11], s[4:5], 0x0
	v_mul_lo_u16 v1, v1, 11
	v_mul_hi_u32 v40, 0xb21642c9, v104
	s_mov_b32 s13, 0xbfee6f0e
	s_load_dwordx2 s[4:5], s[4:5], 0x38
                                        ; implicit-def: $vgpr80_vgpr81
                                        ; implicit-def: $vgpr84_vgpr85
	v_sub_nc_u16 v76, v0, v1
	v_lshrrev_b32_e32 v60, 4, v40
	v_and_b32_e32 v231, 0xffff, v76
	v_mul_lo_u32 v60, v60, 23
	v_lshlrev_b32_e32 v234, 4, v231
	s_waitcnt lgkmcnt(0)
	s_load_dwordx4 s[16:19], s[0:1], 0x0
	v_sub_nc_u32_e32 v60, v104, v60
	s_waitcnt lgkmcnt(0)
	v_mad_u64_u32 v[0:1], null, s18, v104, 0
	v_mad_u64_u32 v[2:3], null, s16, v231, 0
	s_mul_i32 s0, s17, 0xb0
	s_mul_hi_u32 s1, s16, 0xb0
	s_mul_i32 s6, s16, 0xb0
	s_add_i32 s1, s1, s0
	v_mad_u64_u32 v[4:5], null, s19, v104, v[1:2]
	v_mad_u64_u32 v[5:6], null, s17, v231, v[3:4]
	v_mov_b32_e32 v1, v4
	v_lshlrev_b64 v[0:1], 4, v[0:1]
	v_mov_b32_e32 v3, v5
	v_add_co_u32 v0, vcc_lo, s14, v0
	v_lshlrev_b64 v[2:3], 4, v[2:3]
	v_add_co_ci_u32_e32 v1, vcc_lo, s15, v1, vcc_lo
	v_add_co_u32 v8, vcc_lo, v0, v2
	v_add_co_ci_u32_e32 v9, vcc_lo, v1, v3, vcc_lo
	s_clause 0x1
	global_load_dwordx4 v[0:3], v234, s[8:9]
	global_load_dwordx4 v[4:7], v234, s[8:9] offset:176
	v_add_co_u32 v10, vcc_lo, v8, s6
	v_add_co_ci_u32_e32 v11, vcc_lo, s1, v9, vcc_lo
	global_load_dwordx4 v[20:23], v[8:9], off
	v_add_co_u32 v12, vcc_lo, v10, s6
	v_add_co_ci_u32_e32 v13, vcc_lo, s1, v11, vcc_lo
	s_clause 0x1
	global_load_dwordx4 v[24:27], v[10:11], off
	global_load_dwordx4 v[28:31], v[12:13], off
	v_add_co_u32 v16, vcc_lo, v12, s6
	v_add_co_ci_u32_e32 v17, vcc_lo, s1, v13, vcc_lo
	v_add_co_u32 v36, vcc_lo, v16, s6
	v_add_co_ci_u32_e32 v37, vcc_lo, s1, v17, vcc_lo
	s_clause 0x1
	global_load_dwordx4 v[12:15], v234, s[8:9] offset:352
	global_load_dwordx4 v[8:11], v234, s[8:9] offset:528
	global_load_dwordx4 v[32:35], v[16:17], off
	global_load_dwordx4 v[16:19], v234, s[8:9] offset:704
	global_load_dwordx4 v[36:39], v[36:37], off
	s_load_dwordx4 s[0:3], s[2:3], 0x0
	s_mov_b32 s6, 0x134454ff
	s_mov_b32 s7, 0x3fee6f0e
	;; [unrolled: 1-line block ×3, first 2 shown]
	v_cmp_gt_u16_e32 vcc_lo, 5, v76
	s_waitcnt vmcnt(7)
	v_mul_f64 v[40:41], v[22:23], v[2:3]
	v_mul_f64 v[42:43], v[20:21], v[2:3]
	s_waitcnt vmcnt(6)
	v_mul_f64 v[44:45], v[26:27], v[6:7]
	v_mul_f64 v[46:47], v[24:25], v[6:7]
	;; [unrolled: 3-line block ×5, first 2 shown]
	v_fma_f64 v[20:21], v[20:21], v[0:1], v[40:41]
	v_fma_f64 v[22:23], v[22:23], v[0:1], -v[42:43]
	v_mul_u32_u24_e32 v40, 55, v60
	v_fma_f64 v[24:25], v[24:25], v[4:5], v[44:45]
	v_fma_f64 v[26:27], v[26:27], v[4:5], -v[46:47]
	v_lshlrev_b32_e32 v233, 4, v40
	v_fma_f64 v[28:29], v[28:29], v[12:13], v[48:49]
	v_fma_f64 v[30:31], v[30:31], v[12:13], -v[50:51]
	v_fma_f64 v[32:33], v[32:33], v[8:9], v[52:53]
	v_fma_f64 v[34:35], v[34:35], v[8:9], -v[54:55]
	;; [unrolled: 2-line block ×3, first 2 shown]
	v_add_nc_u32_e32 v232, v234, v233
	ds_write_b128 v232, v[20:23]
	ds_write_b128 v232, v[24:27] offset:176
	ds_write_b128 v232, v[28:31] offset:352
	ds_write_b128 v232, v[32:35] offset:528
	ds_write_b128 v232, v[36:39] offset:704
	s_waitcnt lgkmcnt(0)
	s_barrier
	buffer_gl0_inv
	ds_read_b128 v[20:23], v232 offset:352
	ds_read_b128 v[24:27], v232 offset:528
	;; [unrolled: 1-line block ×4, first 2 shown]
	ds_read_b128 v[36:39], v232
	s_waitcnt lgkmcnt(0)
	s_barrier
	buffer_gl0_inv
	v_add_f64 v[40:41], v[20:21], v[24:25]
	v_add_f64 v[44:45], v[22:23], v[26:27]
	;; [unrolled: 1-line block ×5, first 2 shown]
	v_add_f64 v[50:51], v[34:35], -v[30:31]
	v_add_f64 v[52:53], v[38:39], v[34:35]
	v_add_f64 v[54:55], v[22:23], -v[26:27]
	v_add_f64 v[56:57], v[20:21], -v[24:25]
	;; [unrolled: 1-line block ×8, first 2 shown]
	v_fma_f64 v[40:41], v[40:41], -0.5, v[36:37]
	v_fma_f64 v[44:45], v[44:45], -0.5, v[38:39]
	;; [unrolled: 1-line block ×3, first 2 shown]
	v_add_f64 v[42:43], v[32:33], -v[28:29]
	v_fma_f64 v[38:39], v[46:47], -0.5, v[38:39]
	v_add_f64 v[46:47], v[32:33], -v[20:21]
	v_add_f64 v[32:33], v[20:21], -v[32:33]
	v_add_f64 v[20:21], v[48:49], v[20:21]
	v_add_f64 v[22:23], v[52:53], v[22:23]
	v_add_f64 v[34:35], v[34:35], v[66:67]
	v_fma_f64 v[48:49], v[50:51], s[6:7], v[40:41]
	v_fma_f64 v[40:41], v[50:51], s[12:13], v[40:41]
	v_fma_f64 v[52:53], v[54:55], s[12:13], v[36:37]
	v_fma_f64 v[36:37], v[54:55], s[6:7], v[36:37]
	v_fma_f64 v[68:69], v[42:43], s[12:13], v[44:45]
	v_fma_f64 v[44:45], v[42:43], s[6:7], v[44:45]
	v_fma_f64 v[70:71], v[56:57], s[6:7], v[38:39]
	v_fma_f64 v[38:39], v[56:57], s[12:13], v[38:39]
	s_mov_b32 s6, 0x4755a5e
	s_mov_b32 s7, 0x3fe2cf23
	;; [unrolled: 1-line block ×4, first 2 shown]
	v_add_f64 v[46:47], v[46:47], v[58:59]
	v_add_f64 v[32:33], v[32:33], v[60:61]
	;; [unrolled: 1-line block ×5, first 2 shown]
                                        ; implicit-def: $vgpr64_vgpr65
	v_fma_f64 v[24:25], v[54:55], s[6:7], v[48:49]
	v_fma_f64 v[26:27], v[54:55], s[12:13], v[40:41]
	;; [unrolled: 1-line block ×8, first 2 shown]
	s_mov_b32 s6, 0x372fe950
	s_mov_b32 s7, 0x3fd3c6ef
                                        ; implicit-def: $vgpr68_vgpr69
	v_add_f64 v[72:73], v[20:21], v[28:29]
	v_add_f64 v[74:75], v[22:23], v[30:31]
	v_mul_lo_u16 v20, v76, 5
                                        ; implicit-def: $vgpr76_vgpr77
	v_fma_f64 v[44:45], v[46:47], s[6:7], v[24:25]
	v_fma_f64 v[56:57], v[46:47], s[6:7], v[26:27]
	;; [unrolled: 1-line block ×8, first 2 shown]
	v_and_b32_e32 v20, 0xffff, v20
	v_add_co_u32 v88, s6, s8, v234
	v_add_co_ci_u32_e64 v89, null, s9, 0, s6
	v_lshl_add_u32 v235, v20, 4, v233
	ds_write_b128 v235, v[72:75]
	ds_write_b128 v235, v[44:47] offset:16
	ds_write_b128 v235, v[48:51] offset:32
	;; [unrolled: 1-line block ×4, first 2 shown]
	s_waitcnt lgkmcnt(0)
	s_barrier
	buffer_gl0_inv
                                        ; implicit-def: $vgpr60_vgpr61
	s_and_saveexec_b32 s6, vcc_lo
	s_cbranch_execz .LBB0_3
; %bb.2:
	ds_read_b128 v[72:75], v232
	ds_read_b128 v[44:47], v232 offset:80
	ds_read_b128 v[48:51], v232 offset:160
	;; [unrolled: 1-line block ×10, first 2 shown]
.LBB0_3:
	s_or_b32 exec_lo, exec_lo, s6
	v_and_b32_e32 v20, 0xff, v231
	s_mov_b32 s20, 0xf8bb580b
	s_mov_b32 s21, 0xbfe14ced
	;; [unrolled: 1-line block ×4, first 2 shown]
	v_mul_lo_u16 v20, 0xcd, v20
	s_mov_b32 s19, 0xbfed1bb4
	s_mov_b32 s18, 0x8eee2c13
	;; [unrolled: 1-line block ×4, first 2 shown]
	v_lshrrev_b16 v20, 10, v20
	s_mov_b32 s12, 0x640f44db
	s_mov_b32 s13, 0xbfc2375f
	s_mov_b32 s24, 0xbb3a28a1
	s_mov_b32 s25, 0xbfe82f19
	v_mul_lo_u16 v20, v20, 5
	s_mov_b32 s14, 0x7f775887
	s_mov_b32 s15, 0xbfe4f49e
	;; [unrolled: 1-line block ×4, first 2 shown]
	v_sub_nc_u16 v20, v231, v20
	s_mov_b32 s16, 0x9bcd5057
	s_mov_b32 s17, 0xbfeeb42a
	;; [unrolled: 1-line block ×4, first 2 shown]
	v_mul_lo_u16 v20, v20, 10
	s_mov_b32 s31, 0x3fefac9e
	s_mov_b32 s30, s22
	;; [unrolled: 1-line block ×4, first 2 shown]
	v_and_b32_e32 v20, 0xfe, v20
	v_lshlrev_b32_e32 v123, 4, v20
	s_clause 0x5
	global_load_dwordx4 v[32:35], v123, s[10:11]
	global_load_dwordx4 v[28:31], v123, s[10:11] offset:16
	global_load_dwordx4 v[20:23], v123, s[10:11] offset:32
	global_load_dwordx4 v[24:27], v123, s[10:11] offset:48
	global_load_dwordx4 v[40:43], v123, s[10:11] offset:64
	global_load_dwordx4 v[36:39], v123, s[10:11] offset:80
	s_waitcnt vmcnt(5) lgkmcnt(9)
	v_mul_f64 v[90:91], v[46:47], v[34:35]
	v_mul_f64 v[92:93], v[44:45], v[34:35]
	s_waitcnt vmcnt(4) lgkmcnt(8)
	v_mul_f64 v[94:95], v[50:51], v[30:31]
	v_fma_f64 v[129:130], v[44:45], v[32:33], -v[90:91]
	v_mul_f64 v[44:45], v[48:49], v[30:31]
	v_fma_f64 v[131:132], v[46:47], v[32:33], v[92:93]
	s_waitcnt vmcnt(3) lgkmcnt(7)
	v_mul_f64 v[46:47], v[54:55], v[22:23]
	v_fma_f64 v[105:106], v[48:49], v[28:29], -v[94:95]
	s_waitcnt vmcnt(2) lgkmcnt(6)
	v_mul_f64 v[48:49], v[58:59], v[26:27]
	v_fma_f64 v[115:116], v[50:51], v[28:29], v[44:45]
	v_mul_f64 v[44:45], v[52:53], v[22:23]
	v_fma_f64 v[107:108], v[52:53], v[20:21], -v[46:47]
	s_waitcnt vmcnt(1) lgkmcnt(5)
	v_mul_f64 v[46:47], v[66:67], v[42:43]
	v_fma_f64 v[109:110], v[56:57], v[24:25], -v[48:49]
	s_waitcnt vmcnt(0) lgkmcnt(4)
	v_mul_f64 v[48:49], v[70:71], v[38:39]
	v_fma_f64 v[117:118], v[54:55], v[20:21], v[44:45]
	v_mul_f64 v[44:45], v[56:57], v[26:27]
	v_fma_f64 v[111:112], v[64:65], v[40:41], -v[46:47]
	v_fma_f64 v[102:103], v[68:69], v[36:37], -v[48:49]
	v_fma_f64 v[119:120], v[58:59], v[24:25], v[44:45]
	v_mul_f64 v[44:45], v[64:65], v[42:43]
	v_add_f64 v[159:160], v[111:112], v[102:103]
	v_add_f64 v[246:247], v[111:112], -v[102:103]
	v_fma_f64 v[121:122], v[66:67], v[40:41], v[44:45]
	v_mul_f64 v[44:45], v[68:69], v[38:39]
	v_mul_f64 v[173:174], v[246:247], s[26:27]
	v_mul_f64 v[199:200], v[246:247], s[28:29]
	v_mul_f64 v[195:196], v[246:247], s[24:25]
	v_fma_f64 v[113:114], v[70:71], v[36:37], v[44:45]
	global_load_dwordx4 v[44:47], v123, s[10:11] offset:96
	v_add_f64 v[244:245], v[121:122], -v[113:114]
	v_add_f64 v[161:162], v[121:122], v[113:114]
	v_mul_f64 v[167:168], v[244:245], s[26:27]
	v_mul_f64 v[193:194], v[244:245], s[28:29]
	;; [unrolled: 1-line block ×3, first 2 shown]
	s_waitcnt vmcnt(0) lgkmcnt(3)
	v_mul_f64 v[48:49], v[78:79], v[46:47]
	v_fma_f64 v[96:97], v[76:77], v[44:45], -v[48:49]
	v_mul_f64 v[48:49], v[76:77], v[46:47]
	v_add_f64 v[147:148], v[109:110], v[96:97]
	v_fma_f64 v[100:101], v[78:79], v[44:45], v[48:49]
	global_load_dwordx4 v[48:51], v123, s[10:11] offset:112
	v_add_f64 v[242:243], v[109:110], -v[96:97]
	v_add_f64 v[240:241], v[119:120], -v[100:101]
	v_add_f64 v[155:156], v[119:120], v[100:101]
	v_mul_f64 v[165:166], v[242:243], s[24:25]
	v_mul_f64 v[181:182], v[242:243], s[30:31]
	;; [unrolled: 1-line block ×8, first 2 shown]
	s_waitcnt vmcnt(0) lgkmcnt(2)
	v_mul_f64 v[52:53], v[82:83], v[50:51]
	v_fma_f64 v[92:93], v[80:81], v[48:49], -v[52:53]
	v_mul_f64 v[52:53], v[80:81], v[50:51]
	v_add_f64 v[139:140], v[107:108], v[92:93]
	v_fma_f64 v[98:99], v[82:83], v[48:49], v[52:53]
	global_load_dwordx4 v[52:55], v123, s[10:11] offset:128
	v_add_f64 v[238:239], v[107:108], -v[92:93]
	v_add_f64 v[236:237], v[117:118], -v[98:99]
	v_add_f64 v[141:142], v[117:118], v[98:99]
	v_mul_f64 v[157:158], v[238:239], s[22:23]
	v_mul_f64 v[177:178], v[238:239], s[34:35]
	;; [unrolled: 1-line block ×6, first 2 shown]
	s_waitcnt vmcnt(0) lgkmcnt(1)
	v_mul_f64 v[56:57], v[86:87], v[54:55]
	v_fma_f64 v[90:91], v[84:85], v[52:53], -v[56:57]
	v_mul_f64 v[56:57], v[84:85], v[54:55]
	v_add_f64 v[127:128], v[105:106], v[90:91]
	v_fma_f64 v[94:95], v[86:87], v[52:53], v[56:57]
	global_load_dwordx4 v[56:59], v123, s[10:11] offset:144
	s_mov_b32 s10, 0xd9c712b6
	s_mov_b32 s11, 0x3fda9628
	v_add_f64 v[84:85], v[105:106], -v[90:91]
	v_add_f64 v[86:87], v[115:116], -v[94:95]
	v_add_f64 v[133:134], v[115:116], v[94:95]
	v_mul_f64 v[137:138], v[84:85], s[18:19]
	v_mul_f64 v[171:172], v[84:85], s[24:25]
	;; [unrolled: 1-line block ×10, first 2 shown]
	v_fma_f64 v[68:69], v[133:134], s[14:15], -v[171:172]
	v_fma_f64 v[76:77], v[133:134], s[16:17], -v[203:204]
	;; [unrolled: 1-line block ×3, first 2 shown]
	v_fma_f64 v[252:253], v[133:134], s[6:7], v[84:85]
	v_fma_f64 v[84:85], v[133:134], s[6:7], -v[84:85]
	v_fma_f64 v[66:67], v[127:128], s[14:15], v[169:170]
	v_fma_f64 v[78:79], v[127:128], s[12:13], v[219:220]
	v_fma_f64 v[250:251], v[127:128], s[6:7], -v[86:87]
	v_fma_f64 v[86:87], v[127:128], s[6:7], v[86:87]
	s_waitcnt vmcnt(0) lgkmcnt(0)
	v_mul_f64 v[64:65], v[60:61], v[58:59]
	v_fma_f64 v[123:124], v[62:63], v[56:57], v[64:65]
	v_mul_f64 v[62:63], v[62:63], v[58:59]
	v_fma_f64 v[64:65], v[133:134], s[10:11], -v[137:138]
	v_add_f64 v[82:83], v[131:132], -v[123:124]
	v_fma_f64 v[125:126], v[60:61], v[56:57], -v[62:63]
	v_fma_f64 v[62:63], v[127:128], s[10:11], v[135:136]
	v_add_f64 v[153:154], v[131:132], v[123:124]
	v_mul_f64 v[145:146], v[82:83], s[20:21]
	v_add_f64 v[143:144], v[129:130], v[125:126]
	v_add_f64 v[80:81], v[129:130], -v[125:126]
	v_mul_f64 v[201:202], v[82:83], s[18:19]
	v_mul_f64 v[207:208], v[82:83], s[22:23]
	v_mul_f64 v[227:228], v[82:83], s[24:25]
	v_fma_f64 v[60:61], v[143:144], s[6:7], v[145:146]
	v_mul_f64 v[151:152], v[80:81], s[20:21]
	v_mul_f64 v[205:206], v[80:81], s[18:19]
	v_mul_f64 v[213:214], v[80:81], s[22:23]
	s_mov_b32 s19, 0x3fed1bb4
	v_mul_f64 v[229:230], v[80:81], s[24:25]
	v_mul_f64 v[187:188], v[236:237], s[18:19]
	v_mul_f64 v[191:192], v[238:239], s[18:19]
	v_mul_f64 v[236:237], v[236:237], s[24:25]
	v_mul_f64 v[238:239], v[238:239], s[24:25]
	v_mul_f64 v[240:241], v[240:241], s[18:19]
	v_mul_f64 v[242:243], v[242:243], s[18:19]
	v_add_f64 v[60:61], v[72:73], v[60:61]
	v_add_f64 v[60:61], v[62:63], v[60:61]
	v_fma_f64 v[62:63], v[153:154], s[6:7], -v[151:152]
	v_add_f64 v[62:63], v[74:75], v[62:63]
	v_add_f64 v[62:63], v[64:65], v[62:63]
	v_fma_f64 v[64:65], v[139:140], s[12:13], v[149:150]
	v_add_f64 v[60:61], v[64:65], v[60:61]
	v_fma_f64 v[64:65], v[141:142], s[12:13], -v[157:158]
	v_add_f64 v[62:63], v[64:65], v[62:63]
	v_fma_f64 v[64:65], v[147:148], s[14:15], v[163:164]
	v_add_f64 v[60:61], v[64:65], v[60:61]
	v_fma_f64 v[64:65], v[155:156], s[14:15], -v[165:166]
	;; [unrolled: 4-line block ×3, first 2 shown]
	v_add_f64 v[62:63], v[64:65], v[62:63]
	v_fma_f64 v[64:65], v[143:144], s[10:11], v[201:202]
	v_add_f64 v[64:65], v[72:73], v[64:65]
	v_add_f64 v[64:65], v[66:67], v[64:65]
	v_fma_f64 v[66:67], v[153:154], s[10:11], -v[205:206]
	v_add_f64 v[66:67], v[74:75], v[66:67]
	v_add_f64 v[66:67], v[68:69], v[66:67]
	v_fma_f64 v[68:69], v[139:140], s[16:17], v[175:176]
	v_add_f64 v[64:65], v[68:69], v[64:65]
	v_fma_f64 v[68:69], v[141:142], s[16:17], -v[177:178]
	v_add_f64 v[66:67], v[68:69], v[66:67]
	v_fma_f64 v[68:69], v[147:148], s[12:13], v[179:180]
	v_add_f64 v[64:65], v[68:69], v[64:65]
	v_fma_f64 v[68:69], v[155:156], s[12:13], -v[181:182]
	v_add_f64 v[66:67], v[68:69], v[66:67]
	v_fma_f64 v[68:69], v[159:160], s[6:7], v[193:194]
	v_add_f64 v[68:69], v[68:69], v[64:65]
	v_fma_f64 v[64:65], v[161:162], s[6:7], -v[199:200]
	v_add_f64 v[70:71], v[64:65], v[66:67]
	v_fma_f64 v[64:65], v[143:144], s[12:13], v[207:208]
	v_fma_f64 v[66:67], v[127:128], s[16:17], v[183:184]
	v_add_f64 v[64:65], v[72:73], v[64:65]
	v_add_f64 v[64:65], v[66:67], v[64:65]
	v_fma_f64 v[66:67], v[153:154], s[12:13], -v[213:214]
	v_add_f64 v[66:67], v[74:75], v[66:67]
	v_add_f64 v[66:67], v[76:77], v[66:67]
	v_fma_f64 v[76:77], v[139:140], s[10:11], v[187:188]
	v_add_f64 v[64:65], v[76:77], v[64:65]
	v_fma_f64 v[76:77], v[141:142], s[10:11], -v[191:192]
	v_add_f64 v[66:67], v[76:77], v[66:67]
	v_fma_f64 v[76:77], v[147:148], s[6:7], v[189:190]
	v_add_f64 v[64:65], v[76:77], v[64:65]
	v_fma_f64 v[76:77], v[155:156], s[6:7], -v[197:198]
	;; [unrolled: 4-line block ×3, first 2 shown]
	v_add_f64 v[66:67], v[76:77], v[66:67]
	v_fma_f64 v[76:77], v[143:144], s[14:15], v[227:228]
	v_add_f64 v[76:77], v[72:73], v[76:77]
	v_add_f64 v[76:77], v[78:79], v[76:77]
	v_fma_f64 v[78:79], v[153:154], s[14:15], -v[229:230]
	v_add_f64 v[78:79], v[74:75], v[78:79]
	v_add_f64 v[78:79], v[209:210], v[78:79]
	v_fma_f64 v[209:210], v[139:140], s[6:7], v[221:222]
	v_add_f64 v[76:77], v[209:210], v[76:77]
	v_fma_f64 v[209:210], v[141:142], s[6:7], -v[225:226]
	v_add_f64 v[78:79], v[209:210], v[78:79]
	v_fma_f64 v[209:210], v[147:148], s[16:17], v[215:216]
	v_add_f64 v[76:77], v[209:210], v[76:77]
	v_fma_f64 v[209:210], v[155:156], s[16:17], -v[217:218]
	v_add_f64 v[78:79], v[209:210], v[78:79]
	v_mul_f64 v[209:210], v[244:245], s[18:19]
	v_mul_f64 v[244:245], v[244:245], s[22:23]
	v_fma_f64 v[211:212], v[159:160], s[10:11], v[209:210]
	v_add_f64 v[76:77], v[211:212], v[76:77]
	v_mul_f64 v[211:212], v[246:247], s[18:19]
	v_mul_f64 v[246:247], v[246:247], s[22:23]
	v_fma_f64 v[248:249], v[161:162], s[10:11], -v[211:212]
	v_add_f64 v[78:79], v[248:249], v[78:79]
	v_mul_f64 v[248:249], v[82:83], s[26:27]
	v_fma_f64 v[82:83], v[143:144], s[16:17], -v[248:249]
	v_fma_f64 v[248:249], v[143:144], s[16:17], v[248:249]
	v_add_f64 v[82:83], v[72:73], v[82:83]
	v_add_f64 v[248:249], v[72:73], v[248:249]
	;; [unrolled: 1-line block ×3, first 2 shown]
	v_mul_f64 v[250:251], v[80:81], s[26:27]
	v_add_f64 v[86:87], v[86:87], v[248:249]
	v_fma_f64 v[80:81], v[153:154], s[16:17], v[250:251]
	v_fma_f64 v[248:249], v[153:154], s[16:17], -v[250:251]
	v_add_f64 v[80:81], v[74:75], v[80:81]
	v_add_f64 v[248:249], v[74:75], v[248:249]
	;; [unrolled: 1-line block ×3, first 2 shown]
	v_fma_f64 v[252:253], v[139:140], s[14:15], -v[236:237]
	v_fma_f64 v[236:237], v[139:140], s[14:15], v[236:237]
	v_add_f64 v[84:85], v[84:85], v[248:249]
	v_add_f64 v[82:83], v[252:253], v[82:83]
	v_fma_f64 v[252:253], v[141:142], s[14:15], v[238:239]
	v_add_f64 v[86:87], v[236:237], v[86:87]
	v_fma_f64 v[236:237], v[141:142], s[14:15], -v[238:239]
	v_fma_f64 v[238:239], v[161:162], s[12:13], -v[246:247]
	v_add_f64 v[80:81], v[252:253], v[80:81]
	v_fma_f64 v[252:253], v[147:148], s[10:11], -v[240:241]
	v_add_f64 v[84:85], v[236:237], v[84:85]
	v_fma_f64 v[236:237], v[147:148], s[10:11], v[240:241]
	v_add_f64 v[82:83], v[252:253], v[82:83]
	v_fma_f64 v[252:253], v[155:156], s[10:11], v[242:243]
	v_add_f64 v[86:87], v[236:237], v[86:87]
	v_fma_f64 v[236:237], v[155:156], s[10:11], -v[242:243]
	v_add_f64 v[252:253], v[252:253], v[80:81]
	v_fma_f64 v[80:81], v[159:160], s[12:13], -v[244:245]
	v_add_f64 v[236:237], v[236:237], v[84:85]
	v_fma_f64 v[84:85], v[159:160], s[12:13], v[244:245]
	v_add_f64 v[80:81], v[80:81], v[82:83]
	v_fma_f64 v[82:83], v[161:162], s[12:13], v[246:247]
	v_add_f64 v[84:85], v[84:85], v[86:87]
	v_add_f64 v[86:87], v[238:239], v[236:237]
	;; [unrolled: 1-line block ×3, first 2 shown]
	s_and_saveexec_b32 s18, vcc_lo
	s_cbranch_execz .LBB0_5
; %bb.4:
	v_mul_f64 v[236:237], v[153:154], s[14:15]
	v_add_f64 v[229:230], v[229:230], v[236:237]
	v_mul_f64 v[236:237], v[143:144], s[14:15]
	v_add_f64 v[227:228], v[236:237], -v[227:228]
	v_mul_f64 v[236:237], v[153:154], s[12:13]
	v_add_f64 v[213:214], v[213:214], v[236:237]
	v_mul_f64 v[236:237], v[153:154], s[10:11]
	v_mul_f64 v[153:154], v[153:154], s[6:7]
	v_add_f64 v[213:214], v[74:75], v[213:214]
	v_add_f64 v[205:206], v[205:206], v[236:237]
	;; [unrolled: 1-line block ×3, first 2 shown]
	v_mul_f64 v[153:154], v[143:144], s[6:7]
	v_add_f64 v[205:206], v[74:75], v[205:206]
	v_add_f64 v[151:152], v[74:75], v[151:152]
	v_add_f64 v[145:146], v[153:154], -v[145:146]
	v_mul_f64 v[153:154], v[143:144], s[10:11]
	v_mul_f64 v[143:144], v[143:144], s[12:13]
	v_add_f64 v[145:146], v[72:73], v[145:146]
	v_add_f64 v[153:154], v[153:154], -v[201:202]
	v_add_f64 v[143:144], v[143:144], -v[207:208]
	v_add_f64 v[201:202], v[74:75], v[131:132]
	v_add_f64 v[207:208], v[72:73], v[129:130]
	;; [unrolled: 1-line block ×4, first 2 shown]
	v_mul_f64 v[74:75], v[127:128], s[12:13]
	v_add_f64 v[153:154], v[72:73], v[153:154]
	v_add_f64 v[143:144], v[72:73], v[143:144]
	v_mul_f64 v[72:73], v[133:134], s[12:13]
	v_add_f64 v[105:106], v[207:208], v[105:106]
	v_add_f64 v[115:116], v[201:202], v[115:116]
	v_add_f64 v[74:75], v[74:75], -v[219:220]
	v_mul_f64 v[219:220], v[141:142], s[6:7]
	v_add_f64 v[72:73], v[223:224], v[72:73]
	v_mul_f64 v[223:224], v[139:140], s[6:7]
	v_add_f64 v[105:106], v[105:106], v[107:108]
	v_add_f64 v[115:116], v[115:116], v[117:118]
	;; [unrolled: 1-line block ×4, first 2 shown]
	v_mul_f64 v[131:132], v[159:160], s[10:11]
	v_mul_f64 v[107:108], v[141:142], s[10:11]
	v_add_f64 v[72:73], v[72:73], v[129:130]
	v_add_f64 v[221:222], v[223:224], -v[221:222]
	v_mul_f64 v[223:224], v[155:156], s[16:17]
	v_mul_f64 v[129:130], v[161:162], s[10:11]
	v_add_f64 v[105:106], v[105:106], v[109:110]
	v_add_f64 v[115:116], v[115:116], v[119:120]
	v_add_f64 v[131:132], v[131:132], -v[209:210]
	v_mul_f64 v[109:110], v[139:140], s[10:11]
	v_add_f64 v[107:108], v[191:192], v[107:108]
	v_add_f64 v[72:73], v[219:220], v[72:73]
	v_add_f64 v[74:75], v[221:222], v[74:75]
	v_add_f64 v[217:218], v[217:218], v[223:224]
	v_mul_f64 v[223:224], v[147:148], s[16:17]
	v_add_f64 v[129:130], v[211:212], v[129:130]
	v_add_f64 v[105:106], v[105:106], v[111:112]
	;; [unrolled: 1-line block ×3, first 2 shown]
	v_add_f64 v[109:110], v[109:110], -v[187:188]
	v_mul_f64 v[111:112], v[155:156], s[6:7]
	v_add_f64 v[72:73], v[217:218], v[72:73]
	v_add_f64 v[215:216], v[223:224], -v[215:216]
	v_add_f64 v[102:103], v[105:106], v[102:103]
	v_add_f64 v[113:114], v[115:116], v[113:114]
	v_mul_f64 v[105:106], v[147:148], s[6:7]
	v_add_f64 v[111:112], v[197:198], v[111:112]
	v_add_f64 v[209:210], v[215:216], v[74:75]
	;; [unrolled: 1-line block ×3, first 2 shown]
	v_mul_f64 v[129:130], v[133:134], s[10:11]
	v_add_f64 v[96:97], v[102:103], v[96:97]
	v_add_f64 v[100:101], v[113:114], v[100:101]
	v_add_f64 v[105:106], v[105:106], -v[189:190]
	v_mul_f64 v[102:103], v[161:162], s[14:15]
	v_add_f64 v[72:73], v[131:132], v[209:210]
	v_mul_f64 v[131:132], v[127:128], s[10:11]
	v_add_f64 v[129:130], v[137:138], v[129:130]
	;; [unrolled: 2-line block ×4, first 2 shown]
	v_add_f64 v[102:103], v[195:196], v[102:103]
	v_add_f64 v[131:132], v[131:132], -v[135:136]
	v_mul_f64 v[135:136], v[141:142], s[12:13]
	v_add_f64 v[137:138], v[137:138], -v[149:150]
	v_mul_f64 v[149:150], v[155:156], s[14:15]
	v_add_f64 v[129:130], v[129:130], v[151:152]
	v_mul_f64 v[151:152], v[155:156], s[12:13]
	v_add_f64 v[100:101], v[96:97], -v[185:186]
	v_add_f64 v[98:99], v[98:99], v[94:95]
	v_add_f64 v[131:132], v[131:132], v[145:146]
	;; [unrolled: 1-line block ×3, first 2 shown]
	v_mul_f64 v[157:158], v[147:148], s[14:15]
	v_add_f64 v[149:150], v[165:166], v[149:150]
	v_mul_f64 v[145:146], v[161:162], s[16:17]
	v_add_f64 v[151:152], v[181:182], v[151:152]
	;; [unrolled: 2-line block ×3, first 2 shown]
	v_add_f64 v[129:130], v[135:136], v[129:130]
	v_add_f64 v[157:158], v[157:158], -v[163:164]
	v_mul_f64 v[135:136], v[159:160], s[16:17]
	v_add_f64 v[145:146], v[173:174], v[145:146]
	v_mul_f64 v[163:164], v[161:162], s[6:7]
	v_add_f64 v[165:166], v[165:166], -v[193:194]
	v_add_f64 v[129:130], v[149:150], v[129:130]
	v_add_f64 v[137:138], v[157:158], v[131:132]
	v_add_f64 v[135:136], v[135:136], -v[167:168]
	v_mul_f64 v[149:150], v[139:140], s[16:17]
	v_mul_f64 v[157:158], v[147:148], s[12:13]
	v_add_f64 v[163:164], v[199:200], v[163:164]
	v_add_f64 v[131:132], v[145:146], v[129:130]
	v_mul_f64 v[145:146], v[141:142], s[16:17]
	v_add_f64 v[129:130], v[135:136], v[137:138]
	v_mul_f64 v[135:136], v[133:134], s[14:15]
	v_mul_f64 v[137:138], v[127:128], s[14:15]
	;; [unrolled: 1-line block ×4, first 2 shown]
	v_add_f64 v[149:150], v[149:150], -v[175:176]
	v_add_f64 v[157:158], v[157:158], -v[179:180]
	v_add_f64 v[145:146], v[177:178], v[145:146]
	v_add_f64 v[135:136], v[171:172], v[135:136]
	v_add_f64 v[137:138], v[137:138], -v[169:170]
	v_add_f64 v[133:134], v[203:204], v[133:134]
	v_add_f64 v[127:128], v[127:128], -v[183:184]
	v_add_f64 v[115:116], v[135:136], v[205:206]
	v_add_f64 v[117:118], v[137:138], v[153:154]
	;; [unrolled: 1-line block ×19, first 2 shown]
	v_lshl_add_u32 v102, v231, 4, v233
	ds_write_b128 v102, v[80:83] offset:400
	ds_write_b128 v102, v[84:87] offset:480
	;; [unrolled: 1-line block ×9, first 2 shown]
	ds_write_b128 v232, v[98:101]
	ds_write_b128 v102, v[60:63] offset:800
.LBB0_5:
	s_or_b32 exec_lo, exec_lo, s18
	s_add_u32 s6, s8, 0x370
	s_addc_u32 s7, s9, 0
	s_waitcnt lgkmcnt(0)
	s_barrier
	buffer_gl0_inv
	s_clause 0x4
	global_load_dwordx4 v[72:75], v[88:89], off offset:880
	global_load_dwordx4 v[88:91], v234, s[6:7] offset:176
	global_load_dwordx4 v[92:95], v234, s[6:7] offset:352
	;; [unrolled: 1-line block ×4, first 2 shown]
	ds_read_b128 v[105:108], v232
	ds_read_b128 v[109:112], v232 offset:176
	ds_read_b128 v[113:116], v232 offset:352
	ds_read_b128 v[117:120], v232 offset:528
	ds_read_b128 v[121:124], v232 offset:704
	s_mov_b32 s6, 0x134454ff
	s_mov_b32 s7, 0xbfee6f0e
	;; [unrolled: 1-line block ×4, first 2 shown]
	s_waitcnt vmcnt(4) lgkmcnt(4)
	v_mul_f64 v[125:126], v[107:108], v[74:75]
	v_mul_f64 v[74:75], v[105:106], v[74:75]
	s_waitcnt vmcnt(3) lgkmcnt(3)
	v_mul_f64 v[127:128], v[111:112], v[90:91]
	v_mul_f64 v[90:91], v[109:110], v[90:91]
	;; [unrolled: 3-line block ×5, first 2 shown]
	v_fma_f64 v[105:106], v[105:106], v[72:73], -v[125:126]
	v_fma_f64 v[107:108], v[107:108], v[72:73], v[74:75]
	v_fma_f64 v[72:73], v[109:110], v[88:89], -v[127:128]
	v_fma_f64 v[74:75], v[111:112], v[88:89], v[90:91]
	;; [unrolled: 2-line block ×5, first 2 shown]
	ds_write_b128 v232, v[105:108]
	ds_write_b128 v232, v[72:75] offset:176
	ds_write_b128 v232, v[88:91] offset:352
	;; [unrolled: 1-line block ×4, first 2 shown]
	s_waitcnt lgkmcnt(0)
	s_barrier
	buffer_gl0_inv
	ds_read_b128 v[72:75], v232 offset:352
	ds_read_b128 v[88:91], v232 offset:528
	;; [unrolled: 1-line block ×4, first 2 shown]
	ds_read_b128 v[100:103], v232
	s_waitcnt lgkmcnt(0)
	s_barrier
	buffer_gl0_inv
	v_add_f64 v[105:106], v[72:73], v[88:89]
	v_add_f64 v[109:110], v[74:75], v[90:91]
	;; [unrolled: 1-line block ×5, first 2 shown]
	v_add_f64 v[115:116], v[94:95], -v[98:99]
	v_add_f64 v[117:118], v[74:75], -v[90:91]
	v_add_f64 v[119:120], v[102:103], v[94:95]
	v_add_f64 v[121:122], v[92:93], -v[96:97]
	v_add_f64 v[123:124], v[96:97], -v[88:89]
	;; [unrolled: 1-line block ×7, first 2 shown]
	v_fma_f64 v[105:106], v[105:106], -0.5, v[100:101]
	v_fma_f64 v[109:110], v[109:110], -0.5, v[102:103]
	;; [unrolled: 1-line block ×3, first 2 shown]
	v_add_f64 v[107:108], v[72:73], -v[88:89]
	v_fma_f64 v[102:103], v[111:112], -0.5, v[102:103]
	v_add_f64 v[111:112], v[92:93], -v[72:73]
	v_add_f64 v[92:93], v[72:73], -v[92:93]
	v_add_f64 v[72:73], v[113:114], v[72:73]
	v_add_f64 v[74:75], v[119:120], v[74:75]
	;; [unrolled: 1-line block ×3, first 2 shown]
	v_fma_f64 v[113:114], v[115:116], s[6:7], v[105:106]
	v_fma_f64 v[105:106], v[115:116], s[8:9], v[105:106]
	;; [unrolled: 1-line block ×8, first 2 shown]
	s_mov_b32 s6, 0x4755a5e
	s_mov_b32 s7, 0xbfe2cf23
	s_mov_b32 s9, 0x3fe2cf23
	s_mov_b32 s8, s6
	v_add_f64 v[111:112], v[111:112], v[123:124]
	v_add_f64 v[123:124], v[92:93], v[125:126]
	v_add_f64 v[125:126], v[127:128], v[129:130]
	v_add_f64 v[72:73], v[72:73], v[88:89]
	v_add_f64 v[74:75], v[74:75], v[90:91]
	v_fma_f64 v[88:89], v[117:118], s[6:7], v[113:114]
	v_fma_f64 v[90:91], v[117:118], s[8:9], v[105:106]
	;; [unrolled: 1-line block ×8, first 2 shown]
	s_mov_b32 s6, 0x372fe950
	s_mov_b32 s7, 0x3fd3c6ef
	v_add_f64 v[72:73], v[72:73], v[96:97]
	v_add_f64 v[74:75], v[74:75], v[98:99]
	v_fma_f64 v[100:101], v[111:112], s[6:7], v[88:89]
	v_fma_f64 v[92:93], v[111:112], s[6:7], v[90:91]
	;; [unrolled: 1-line block ×8, first 2 shown]
	ds_write_b128 v235, v[72:75]
	ds_write_b128 v235, v[100:103] offset:16
	ds_write_b128 v235, v[96:99] offset:32
	ds_write_b128 v235, v[88:91] offset:48
	ds_write_b128 v235, v[92:95] offset:64
	s_waitcnt lgkmcnt(0)
	s_barrier
	buffer_gl0_inv
	s_and_saveexec_b32 s6, vcc_lo
	s_cbranch_execz .LBB0_7
; %bb.6:
	ds_read_b128 v[72:75], v232
	ds_read_b128 v[100:103], v232 offset:80
	ds_read_b128 v[96:99], v232 offset:160
	;; [unrolled: 1-line block ×10, first 2 shown]
.LBB0_7:
	s_or_b32 exec_lo, exec_lo, s6
	s_and_saveexec_b32 s33, vcc_lo
	s_cbranch_execz .LBB0_9
; %bb.8:
	s_waitcnt lgkmcnt(9)
	v_mul_f64 v[105:106], v[34:35], v[102:103]
	s_waitcnt lgkmcnt(0)
	v_mul_f64 v[107:108], v[58:59], v[62:63]
	v_mul_f64 v[34:35], v[34:35], v[100:101]
	;; [unrolled: 1-line block ×14, first 2 shown]
	s_mov_b32 s22, 0xfd768dbf
	s_mov_b32 s23, 0xbfd207e7
	;; [unrolled: 1-line block ×7, first 2 shown]
	v_fma_f64 v[100:101], v[32:33], v[100:101], v[105:106]
	v_fma_f64 v[30:31], v[56:57], v[60:61], v[107:108]
	v_fma_f64 v[34:35], v[32:33], v[102:103], -v[34:35]
	v_fma_f64 v[32:33], v[56:57], v[62:63], -v[58:59]
	v_mul_f64 v[56:57], v[26:27], v[92:93]
	v_mul_f64 v[58:59], v[22:23], v[90:91]
	;; [unrolled: 1-line block ×5, first 2 shown]
	v_fma_f64 v[96:97], v[28:29], v[96:97], v[117:118]
	v_fma_f64 v[22:23], v[52:53], v[68:69], v[119:120]
	v_fma_f64 v[28:29], v[28:29], v[98:99], -v[121:122]
	v_fma_f64 v[26:27], v[52:53], v[70:71], -v[54:55]
	v_fma_f64 v[68:69], v[40:41], v[80:81], v[109:110]
	v_fma_f64 v[70:71], v[36:37], v[84:85], v[111:112]
	v_fma_f64 v[40:41], v[40:41], v[82:83], -v[42:43]
	v_fma_f64 v[36:37], v[36:37], v[86:87], -v[38:39]
	v_fma_f64 v[38:39], v[24:25], v[92:93], v[113:114]
	v_fma_f64 v[42:43], v[44:45], v[76:77], v[115:116]
	v_fma_f64 v[44:45], v[44:45], v[78:79], -v[46:47]
	s_mov_b32 s19, 0xbfeeb42a
	s_mov_b32 s16, 0x43842ef
	s_mov_b32 s8, 0x7f775887
	v_add_f64 v[52:53], v[100:101], -v[30:31]
	s_mov_b32 s10, 0x8764f0ba
	v_add_f64 v[54:55], v[34:35], -v[32:33]
	v_fma_f64 v[56:57], v[24:25], v[94:95], -v[56:57]
	v_fma_f64 v[58:59], v[20:21], v[88:89], v[58:59]
	v_fma_f64 v[24:25], v[48:49], v[64:65], v[60:61]
	v_fma_f64 v[46:47], v[20:21], v[90:91], -v[62:63]
	v_fma_f64 v[20:21], v[48:49], v[66:67], -v[50:51]
	v_add_f64 v[60:61], v[34:35], v[32:33]
	v_add_f64 v[48:49], v[96:97], -v[22:23]
	v_add_f64 v[62:63], v[100:101], v[30:31]
	v_add_f64 v[50:51], v[28:29], -v[26:27]
	v_add_f64 v[82:83], v[28:29], v[26:27]
	v_add_f64 v[90:91], v[96:97], v[22:23]
	s_mov_b32 s17, 0xbfefac9e
	s_mov_b32 s9, 0xbfe4f49e
	;; [unrolled: 1-line block ×5, first 2 shown]
	v_add_f64 v[78:79], v[38:39], -v[42:43]
	s_mov_b32 s6, 0x640f44db
	s_mov_b32 s7, 0xbfc2375f
	v_mul_f64 v[64:65], v[52:53], s[22:23]
	v_mul_f64 v[117:118], v[52:53], s[14:15]
	;; [unrolled: 1-line block ×3, first 2 shown]
	v_add_f64 v[86:87], v[56:57], -v[44:45]
	v_mul_f64 v[129:130], v[54:55], s[14:15]
	v_add_f64 v[80:81], v[58:59], -v[24:25]
	v_add_f64 v[115:116], v[58:59], v[24:25]
	v_add_f64 v[88:89], v[46:47], -v[20:21]
	v_add_f64 v[109:110], v[46:47], v[20:21]
	v_mul_f64 v[92:93], v[48:49], s[12:13]
	v_mul_f64 v[143:144], v[52:53], s[16:17]
	;; [unrolled: 1-line block ×5, first 2 shown]
	s_mov_b32 s25, 0x3fed1bb4
	s_mov_b32 s24, 0x8eee2c13
	;; [unrolled: 1-line block ×6, first 2 shown]
	v_add_f64 v[102:103], v[56:57], v[44:45]
	v_add_f64 v[113:114], v[38:39], v[42:43]
	v_fma_f64 v[105:106], v[60:61], s[18:19], v[64:65]
	v_fma_f64 v[64:65], v[60:61], s[18:19], -v[64:65]
	v_fma_f64 v[107:108], v[62:63], s[18:19], -v[66:67]
	v_fma_f64 v[66:67], v[62:63], s[18:19], v[66:67]
	v_fma_f64 v[147:148], v[60:61], s[8:9], v[117:118]
	v_mul_f64 v[123:124], v[80:81], s[14:15]
	v_add_f64 v[34:35], v[74:75], v[34:35]
	v_mul_f64 v[131:132], v[88:89], s[14:15]
	v_add_f64 v[100:101], v[72:73], v[100:101]
	v_fma_f64 v[133:134], v[82:83], s[10:11], v[92:93]
	v_fma_f64 v[92:93], v[82:83], s[10:11], -v[92:93]
	v_fma_f64 v[135:136], v[90:91], s[10:11], -v[94:95]
	v_fma_f64 v[94:95], v[90:91], s[10:11], v[94:95]
	v_mul_f64 v[121:122], v[78:79], s[24:25]
	v_mul_f64 v[127:128], v[86:87], s[24:25]
	;; [unrolled: 1-line block ×4, first 2 shown]
	v_fma_f64 v[161:162], v[62:63], s[8:9], -v[129:130]
	v_fma_f64 v[117:118], v[60:61], s[8:9], -v[117:118]
	v_fma_f64 v[129:130], v[62:63], s[8:9], v[129:130]
	v_fma_f64 v[165:166], v[82:83], s[6:7], v[145:146]
	v_fma_f64 v[169:170], v[62:63], s[6:7], -v[155:156]
	v_add_f64 v[105:106], v[74:75], v[105:106]
	v_add_f64 v[64:65], v[74:75], v[64:65]
	;; [unrolled: 1-line block ×5, first 2 shown]
	v_fma_f64 v[159:160], v[109:110], s[8:9], v[123:124]
	v_fma_f64 v[123:124], v[109:110], s[8:9], -v[123:124]
	v_fma_f64 v[163:164], v[115:116], s[8:9], -v[131:132]
	v_fma_f64 v[131:132], v[115:116], s[8:9], v[131:132]
	s_mov_b32 s20, 0xd9c712b6
	s_mov_b32 s21, 0x3fda9628
	v_mul_f64 v[139:140], v[78:79], s[22:23]
	v_mul_f64 v[151:152], v[88:89], s[28:29]
	;; [unrolled: 1-line block ×3, first 2 shown]
	v_add_f64 v[28:29], v[34:35], v[28:29]
	v_fma_f64 v[34:35], v[102:103], s[20:21], v[121:122]
	v_fma_f64 v[167:168], v[113:114], s[20:21], -v[127:128]
	v_fma_f64 v[121:122], v[102:103], s[20:21], -v[121:122]
	;; [unrolled: 1-line block ×3, first 2 shown]
	v_fma_f64 v[127:128], v[113:114], s[20:21], v[127:128]
	v_fma_f64 v[145:146], v[82:83], s[6:7], -v[145:146]
	v_fma_f64 v[153:154], v[90:91], s[6:7], v[153:154]
	v_add_f64 v[105:106], v[133:134], v[105:106]
	v_add_f64 v[64:65], v[92:93], v[64:65]
	;; [unrolled: 1-line block ×4, first 2 shown]
	v_mul_f64 v[92:93], v[48:49], s[30:31]
	v_mul_f64 v[133:134], v[50:51], s[30:31]
	v_fma_f64 v[135:136], v[60:61], s[6:7], v[143:144]
	v_mul_f64 v[94:95], v[88:89], s[24:25]
	v_add_f64 v[117:118], v[74:75], v[117:118]
	v_add_f64 v[129:130], v[72:73], v[129:130]
	;; [unrolled: 1-line block ×5, first 2 shown]
	v_add_f64 v[76:77], v[68:69], -v[70:71]
	v_add_f64 v[84:85], v[40:41], -v[36:37]
	v_mul_f64 v[149:150], v[86:87], s[22:23]
	v_add_f64 v[161:162], v[72:73], v[161:162]
	v_fma_f64 v[169:170], v[115:116], s[10:11], -v[151:152]
	v_fma_f64 v[151:152], v[115:116], s[10:11], v[151:152]
	v_fma_f64 v[143:144], v[60:61], s[6:7], -v[143:144]
	v_add_f64 v[28:29], v[28:29], v[46:47]
	v_add_f64 v[98:99], v[40:41], v[36:37]
	;; [unrolled: 1-line block ×6, first 2 shown]
	v_fma_f64 v[123:124], v[82:83], s[18:19], v[92:93]
	v_fma_f64 v[163:164], v[90:91], s[18:19], -v[133:134]
	v_add_f64 v[131:132], v[74:75], v[135:136]
	v_fma_f64 v[135:136], v[109:110], s[10:11], v[141:142]
	v_fma_f64 v[141:142], v[109:110], s[10:11], -v[141:142]
	v_add_f64 v[117:118], v[145:146], v[117:118]
	v_add_f64 v[129:130], v[153:154], v[129:130]
	v_fma_f64 v[153:154], v[115:116], s[20:21], -v[94:95]
	v_add_f64 v[46:47], v[96:97], v[58:59]
	v_mul_f64 v[137:138], v[76:77], s[24:25]
	v_fma_f64 v[58:59], v[102:103], s[18:19], -v[139:140]
	v_fma_f64 v[92:93], v[82:83], s[18:19], -v[92:93]
	v_add_f64 v[161:162], v[171:172], v[161:162]
	v_fma_f64 v[133:134], v[90:91], s[18:19], v[133:134]
	v_fma_f64 v[94:95], v[115:116], s[20:21], v[94:95]
	v_add_f64 v[111:112], v[68:69], v[70:71]
	v_add_f64 v[28:29], v[28:29], v[56:57]
	v_mul_f64 v[119:120], v[76:77], s[16:17]
	v_add_f64 v[34:35], v[34:35], v[105:106]
	v_add_f64 v[64:65], v[121:122], v[64:65]
	v_fma_f64 v[121:122], v[62:63], s[6:7], v[155:156]
	v_add_f64 v[66:67], v[127:128], v[66:67]
	v_fma_f64 v[127:128], v[109:110], s[20:21], v[157:158]
	v_add_f64 v[155:156], v[163:164], v[165:166]
	v_add_f64 v[123:124], v[123:124], v[131:132]
	v_fma_f64 v[131:132], v[102:103], s[18:19], v[139:140]
	v_add_f64 v[135:136], v[135:136], v[147:148]
	v_mul_f64 v[147:148], v[86:87], s[28:29]
	v_add_f64 v[105:106], v[167:168], v[107:108]
	v_mul_f64 v[107:108], v[78:79], s[28:29]
	v_mul_f64 v[163:164], v[84:85], s[24:25]
	s_mov_b32 s25, 0xbfed1bb4
	v_fma_f64 v[165:166], v[113:114], s[18:19], -v[149:150]
	v_add_f64 v[96:97], v[141:142], v[117:118]
	v_fma_f64 v[117:118], v[113:114], s[18:19], v[149:150]
	v_add_f64 v[139:140], v[74:75], v[143:144]
	v_add_f64 v[129:130], v[151:152], v[129:130]
	;; [unrolled: 1-line block ×3, first 2 shown]
	v_mul_f64 v[46:47], v[54:55], s[28:29]
	v_mul_f64 v[54:55], v[54:55], s[24:25]
	v_add_f64 v[161:162], v[169:170], v[161:162]
	v_add_f64 v[28:29], v[28:29], v[40:41]
	;; [unrolled: 1-line block ×3, first 2 shown]
	v_fma_f64 v[145:146], v[98:99], s[20:21], v[137:138]
	v_fma_f64 v[56:57], v[98:99], s[20:21], -v[137:138]
	v_add_f64 v[151:152], v[153:154], v[155:156]
	v_add_f64 v[123:124], v[127:128], v[123:124]
	v_fma_f64 v[137:138], v[109:110], s[20:21], -v[157:158]
	v_add_f64 v[127:128], v[131:132], v[135:136]
	v_mul_f64 v[131:132], v[52:53], s[24:25]
	v_fma_f64 v[149:150], v[113:114], s[10:11], -v[147:148]
	v_mul_f64 v[52:53], v[52:53], s[28:29]
	v_fma_f64 v[143:144], v[102:103], s[10:11], v[107:108]
	v_fma_f64 v[153:154], v[111:112], s[20:21], -v[163:164]
	v_fma_f64 v[107:108], v[102:103], s[10:11], -v[107:108]
	v_add_f64 v[58:59], v[58:59], v[96:97]
	v_fma_f64 v[96:97], v[111:112], s[20:21], v[163:164]
	v_add_f64 v[92:93], v[92:93], v[139:140]
	v_mul_f64 v[125:126], v[84:85], s[16:17]
	v_add_f64 v[38:39], v[38:39], v[68:69]
	v_fma_f64 v[40:41], v[62:63], s[10:11], v[46:47]
	v_fma_f64 v[68:69], v[62:63], s[20:21], v[54:55]
	v_fma_f64 v[54:55], v[62:63], s[20:21], -v[54:55]
	v_fma_f64 v[46:47], v[62:63], s[10:11], -v[46:47]
	v_add_f64 v[121:122], v[133:134], v[121:122]
	v_mul_f64 v[133:134], v[48:49], s[14:15]
	v_mul_f64 v[48:49], v[48:49], s[24:25]
	v_add_f64 v[155:156], v[165:166], v[161:162]
	v_mul_f64 v[62:63], v[80:81], s[30:31]
	v_mul_f64 v[80:81], v[80:81], s[16:17]
	v_add_f64 v[28:29], v[28:29], v[36:37]
	v_fma_f64 v[139:140], v[60:61], s[20:21], -v[131:132]
	v_add_f64 v[149:150], v[149:150], v[151:152]
	v_fma_f64 v[151:152], v[60:61], s[10:11], -v[52:53]
	v_add_f64 v[123:124], v[143:144], v[123:124]
	v_mul_f64 v[143:144], v[50:51], s[14:15]
	v_mul_f64 v[50:51], v[50:51], s[24:25]
	v_fma_f64 v[131:132], v[60:61], s[20:21], v[131:132]
	v_fma_f64 v[52:53], v[60:61], s[10:11], v[52:53]
	v_add_f64 v[92:93], v[137:138], v[92:93]
	v_fma_f64 v[137:138], v[113:114], s[10:11], v[147:148]
	v_add_f64 v[36:37], v[38:39], v[70:71]
	v_add_f64 v[38:39], v[72:73], v[40:41]
	;; [unrolled: 1-line block ×6, first 2 shown]
	v_fma_f64 v[121:122], v[82:83], s[8:9], -v[133:134]
	v_fma_f64 v[161:162], v[82:83], s[20:21], -v[48:49]
	v_mul_f64 v[94:95], v[88:89], s[30:31]
	v_mul_f64 v[88:89], v[88:89], s[16:17]
	v_fma_f64 v[68:69], v[82:83], s[8:9], v[133:134]
	v_fma_f64 v[48:49], v[82:83], s[20:21], v[48:49]
	v_add_f64 v[139:140], v[74:75], v[139:140]
	v_mul_f64 v[72:73], v[78:79], s[26:27]
	v_add_f64 v[151:152], v[74:75], v[151:152]
	v_fma_f64 v[82:83], v[109:110], s[18:19], -v[62:63]
	v_fma_f64 v[147:148], v[90:91], s[8:9], v[143:144]
	v_fma_f64 v[163:164], v[90:91], s[20:21], v[50:51]
	v_add_f64 v[70:71], v[74:75], v[131:132]
	v_fma_f64 v[131:132], v[90:91], s[8:9], -v[143:144]
	v_add_f64 v[52:53], v[74:75], v[52:53]
	v_fma_f64 v[50:51], v[90:91], s[20:21], -v[50:51]
	v_mul_f64 v[78:79], v[78:79], s[14:15]
	v_fma_f64 v[133:134], v[109:110], s[6:7], -v[80:81]
	v_add_f64 v[28:29], v[28:29], v[44:45]
	v_add_f64 v[36:37], v[36:37], v[42:43]
	v_mul_f64 v[74:75], v[86:87], s[26:27]
	v_mul_f64 v[86:87], v[86:87], s[14:15]
	v_fma_f64 v[42:43], v[109:110], s[18:19], v[62:63]
	v_mul_f64 v[141:142], v[76:77], s[14:15]
	v_fma_f64 v[62:63], v[115:116], s[18:19], -v[94:95]
	v_fma_f64 v[143:144], v[115:116], s[6:7], v[88:89]
	v_mul_f64 v[135:136], v[84:85], s[14:15]
	v_add_f64 v[60:61], v[137:138], v[60:61]
	v_add_f64 v[90:91], v[121:122], v[139:140]
	v_fma_f64 v[121:122], v[115:116], s[18:19], v[94:95]
	v_add_f64 v[139:140], v[161:162], v[151:152]
	v_add_f64 v[117:118], v[117:118], v[129:130]
	;; [unrolled: 1-line block ×6, first 2 shown]
	v_fma_f64 v[68:69], v[109:110], s[6:7], v[80:81]
	v_add_f64 v[48:49], v[48:49], v[52:53]
	v_fma_f64 v[52:53], v[115:116], s[6:7], -v[88:89]
	v_add_f64 v[46:47], v[50:51], v[46:47]
	v_add_f64 v[20:21], v[28:29], v[20:21]
	;; [unrolled: 1-line block ×3, first 2 shown]
	v_mul_f64 v[50:51], v[76:77], s[12:13]
	v_mul_f64 v[70:71], v[84:85], s[12:13]
	v_fma_f64 v[80:81], v[102:103], s[6:7], -v[72:73]
	v_mul_f64 v[76:77], v[76:77], s[22:23]
	v_mul_f64 v[84:85], v[84:85], s[22:23]
	v_fma_f64 v[109:110], v[113:114], s[8:9], v[86:87]
	v_fma_f64 v[88:89], v[113:114], s[6:7], v[74:75]
	;; [unrolled: 1-line block ×3, first 2 shown]
	v_add_f64 v[82:83], v[82:83], v[90:91]
	v_fma_f64 v[90:91], v[102:103], s[8:9], -v[78:79]
	v_add_f64 v[94:95], v[133:134], v[139:140]
	v_fma_f64 v[159:160], v[111:112], s[6:7], -v[125:126]
	v_add_f64 v[36:37], v[121:122], v[40:41]
	v_add_f64 v[28:29], v[143:144], v[38:39]
	v_fma_f64 v[38:39], v[102:103], s[6:7], v[72:73]
	v_add_f64 v[40:41], v[42:43], v[44:45]
	v_fma_f64 v[42:43], v[113:114], s[6:7], -v[74:75]
	v_add_f64 v[44:45], v[62:63], v[54:55]
	v_fma_f64 v[54:55], v[102:103], s[8:9], v[78:79]
	v_add_f64 v[48:49], v[68:69], v[48:49]
	v_fma_f64 v[62:63], v[113:114], s[8:9], -v[86:87]
	v_add_f64 v[46:47], v[52:53], v[46:47]
	v_add_f64 v[68:69], v[107:108], v[92:93]
	;; [unrolled: 1-line block ×3, first 2 shown]
	v_fma_f64 v[52:53], v[98:99], s[8:9], -v[141:142]
	v_fma_f64 v[74:75], v[98:99], s[10:11], -v[50:51]
	v_fma_f64 v[72:73], v[111:112], s[8:9], v[135:136]
	v_fma_f64 v[119:120], v[98:99], s[6:7], -v[119:120]
	v_fma_f64 v[125:126], v[111:112], s[6:7], v[125:126]
	v_fma_f64 v[129:130], v[98:99], s[8:9], v[141:142]
	v_add_f64 v[78:79], v[80:81], v[82:83]
	v_fma_f64 v[82:83], v[98:99], s[18:19], -v[76:77]
	v_add_f64 v[86:87], v[90:91], v[94:95]
	v_add_f64 v[94:95], v[24:25], v[22:23]
	v_fma_f64 v[90:91], v[111:112], s[18:19], v[84:85]
	v_add_f64 v[28:29], v[109:110], v[28:29]
	v_fma_f64 v[80:81], v[111:112], s[10:11], v[70:71]
	v_add_f64 v[88:89], v[88:89], v[36:37]
	v_fma_f64 v[157:158], v[111:112], s[8:9], -v[135:136]
	v_fma_f64 v[102:103], v[98:99], s[10:11], v[50:51]
	v_add_f64 v[107:108], v[38:39], v[40:41]
	v_fma_f64 v[70:71], v[111:112], s[10:11], -v[70:71]
	v_add_f64 v[109:110], v[42:43], v[44:45]
	v_fma_f64 v[76:77], v[98:99], s[18:19], v[76:77]
	v_add_f64 v[98:99], v[54:55], v[48:49]
	v_fma_f64 v[84:85], v[111:112], s[18:19], -v[84:85]
	v_add_f64 v[62:63], v[62:63], v[46:47]
	v_add_f64 v[32:33], v[92:93], v[32:33]
	;; [unrolled: 1-line block ×23, first 2 shown]
	v_lshl_add_u32 v28, v231, 4, v233
	ds_write_b128 v232, v[30:33]
	ds_write_b128 v28, v[50:53] offset:80
	ds_write_b128 v28, v[46:49] offset:160
	;; [unrolled: 1-line block ×10, first 2 shown]
.LBB0_9:
	s_or_b32 exec_lo, exec_lo, s33
	s_waitcnt lgkmcnt(0)
	s_barrier
	buffer_gl0_inv
	ds_read_b128 v[20:23], v232
	ds_read_b128 v[24:27], v232 offset:176
	ds_read_b128 v[28:31], v232 offset:352
	;; [unrolled: 1-line block ×4, first 2 shown]
	v_mad_u64_u32 v[40:41], null, s2, v104, 0
	v_mad_u64_u32 v[42:43], null, s0, v231, 0
	s_mul_hi_u32 s6, s0, 0xb0
	s_mulk_i32 s0, 0xb0
	v_mad_u64_u32 v[44:45], null, s3, v104, v[41:42]
	s_mov_b32 s2, 0x29e4129e
	s_mov_b32 s3, 0x3f929e41
	s_waitcnt lgkmcnt(4)
	v_mul_f64 v[45:46], v[2:3], v[22:23]
	v_mul_f64 v[2:3], v[2:3], v[20:21]
	s_waitcnt lgkmcnt(3)
	v_mul_f64 v[47:48], v[6:7], v[26:27]
	v_mul_f64 v[6:7], v[6:7], v[24:25]
	;; [unrolled: 3-line block ×5, first 2 shown]
	v_mad_u64_u32 v[55:56], null, s1, v231, v[43:44]
	v_mov_b32_e32 v41, v44
	s_mulk_i32 s1, 0xb0
	s_add_i32 s6, s6, s1
	v_lshlrev_b64 v[40:41], 4, v[40:41]
	v_mov_b32_e32 v43, v55
	v_fma_f64 v[20:21], v[0:1], v[20:21], v[45:46]
	v_fma_f64 v[2:3], v[0:1], v[22:23], -v[2:3]
	v_fma_f64 v[22:23], v[4:5], v[24:25], v[47:48]
	v_fma_f64 v[6:7], v[4:5], v[26:27], -v[6:7]
	;; [unrolled: 2-line block ×5, first 2 shown]
	v_lshlrev_b64 v[0:1], 4, v[42:43]
	v_add_co_u32 v4, vcc_lo, s4, v40
	v_add_co_ci_u32_e32 v5, vcc_lo, s5, v41, vcc_lo
	v_add_co_u32 v30, vcc_lo, v4, v0
	v_add_co_ci_u32_e32 v31, vcc_lo, v5, v1, vcc_lo
	v_mul_f64 v[0:1], v[20:21], s[2:3]
	v_mul_f64 v[2:3], v[2:3], s[2:3]
	;; [unrolled: 1-line block ×10, first 2 shown]
	v_add_co_u32 v20, vcc_lo, v30, s0
	v_add_co_ci_u32_e32 v21, vcc_lo, s6, v31, vcc_lo
	v_add_co_u32 v22, vcc_lo, v20, s0
	v_add_co_ci_u32_e32 v23, vcc_lo, s6, v21, vcc_lo
	;; [unrolled: 2-line block ×4, first 2 shown]
	global_store_dwordx4 v[30:31], v[0:3], off
	global_store_dwordx4 v[20:21], v[4:7], off
	global_store_dwordx4 v[22:23], v[8:11], off
	global_store_dwordx4 v[24:25], v[12:15], off
	global_store_dwordx4 v[26:27], v[16:19], off
.LBB0_10:
	s_endpgm
	.section	.rodata,"a",@progbits
	.p2align	6, 0x0
	.amdhsa_kernel bluestein_single_back_len55_dim1_dp_op_CI_CI
		.amdhsa_group_segment_fixed_size 20240
		.amdhsa_private_segment_fixed_size 0
		.amdhsa_kernarg_size 104
		.amdhsa_user_sgpr_count 6
		.amdhsa_user_sgpr_private_segment_buffer 1
		.amdhsa_user_sgpr_dispatch_ptr 0
		.amdhsa_user_sgpr_queue_ptr 0
		.amdhsa_user_sgpr_kernarg_segment_ptr 1
		.amdhsa_user_sgpr_dispatch_id 0
		.amdhsa_user_sgpr_flat_scratch_init 0
		.amdhsa_user_sgpr_private_segment_size 0
		.amdhsa_wavefront_size32 1
		.amdhsa_uses_dynamic_stack 0
		.amdhsa_system_sgpr_private_segment_wavefront_offset 0
		.amdhsa_system_sgpr_workgroup_id_x 1
		.amdhsa_system_sgpr_workgroup_id_y 0
		.amdhsa_system_sgpr_workgroup_id_z 0
		.amdhsa_system_sgpr_workgroup_info 0
		.amdhsa_system_vgpr_workitem_id 0
		.amdhsa_next_free_vgpr 254
		.amdhsa_next_free_sgpr 36
		.amdhsa_reserve_vcc 1
		.amdhsa_reserve_flat_scratch 0
		.amdhsa_float_round_mode_32 0
		.amdhsa_float_round_mode_16_64 0
		.amdhsa_float_denorm_mode_32 3
		.amdhsa_float_denorm_mode_16_64 3
		.amdhsa_dx10_clamp 1
		.amdhsa_ieee_mode 1
		.amdhsa_fp16_overflow 0
		.amdhsa_workgroup_processor_mode 1
		.amdhsa_memory_ordered 1
		.amdhsa_forward_progress 0
		.amdhsa_shared_vgpr_count 0
		.amdhsa_exception_fp_ieee_invalid_op 0
		.amdhsa_exception_fp_denorm_src 0
		.amdhsa_exception_fp_ieee_div_zero 0
		.amdhsa_exception_fp_ieee_overflow 0
		.amdhsa_exception_fp_ieee_underflow 0
		.amdhsa_exception_fp_ieee_inexact 0
		.amdhsa_exception_int_div_zero 0
	.end_amdhsa_kernel
	.text
.Lfunc_end0:
	.size	bluestein_single_back_len55_dim1_dp_op_CI_CI, .Lfunc_end0-bluestein_single_back_len55_dim1_dp_op_CI_CI
                                        ; -- End function
	.section	.AMDGPU.csdata,"",@progbits
; Kernel info:
; codeLenInByte = 9456
; NumSgprs: 38
; NumVgprs: 254
; ScratchSize: 0
; MemoryBound: 0
; FloatMode: 240
; IeeeMode: 1
; LDSByteSize: 20240 bytes/workgroup (compile time only)
; SGPRBlocks: 4
; VGPRBlocks: 31
; NumSGPRsForWavesPerEU: 38
; NumVGPRsForWavesPerEU: 254
; Occupancy: 4
; WaveLimiterHint : 1
; COMPUTE_PGM_RSRC2:SCRATCH_EN: 0
; COMPUTE_PGM_RSRC2:USER_SGPR: 6
; COMPUTE_PGM_RSRC2:TRAP_HANDLER: 0
; COMPUTE_PGM_RSRC2:TGID_X_EN: 1
; COMPUTE_PGM_RSRC2:TGID_Y_EN: 0
; COMPUTE_PGM_RSRC2:TGID_Z_EN: 0
; COMPUTE_PGM_RSRC2:TIDIG_COMP_CNT: 0
	.text
	.p2alignl 6, 3214868480
	.fill 48, 4, 3214868480
	.type	__hip_cuid_8f15362092b4c78a,@object ; @__hip_cuid_8f15362092b4c78a
	.section	.bss,"aw",@nobits
	.globl	__hip_cuid_8f15362092b4c78a
__hip_cuid_8f15362092b4c78a:
	.byte	0                               ; 0x0
	.size	__hip_cuid_8f15362092b4c78a, 1

	.ident	"AMD clang version 19.0.0git (https://github.com/RadeonOpenCompute/llvm-project roc-6.4.0 25133 c7fe45cf4b819c5991fe208aaa96edf142730f1d)"
	.section	".note.GNU-stack","",@progbits
	.addrsig
	.addrsig_sym __hip_cuid_8f15362092b4c78a
	.amdgpu_metadata
---
amdhsa.kernels:
  - .args:
      - .actual_access:  read_only
        .address_space:  global
        .offset:         0
        .size:           8
        .value_kind:     global_buffer
      - .actual_access:  read_only
        .address_space:  global
        .offset:         8
        .size:           8
        .value_kind:     global_buffer
      - .actual_access:  read_only
        .address_space:  global
        .offset:         16
        .size:           8
        .value_kind:     global_buffer
      - .actual_access:  read_only
        .address_space:  global
        .offset:         24
        .size:           8
        .value_kind:     global_buffer
      - .actual_access:  read_only
        .address_space:  global
        .offset:         32
        .size:           8
        .value_kind:     global_buffer
      - .offset:         40
        .size:           8
        .value_kind:     by_value
      - .address_space:  global
        .offset:         48
        .size:           8
        .value_kind:     global_buffer
      - .address_space:  global
        .offset:         56
        .size:           8
        .value_kind:     global_buffer
      - .address_space:  global
        .offset:         64
        .size:           8
        .value_kind:     global_buffer
      - .address_space:  global
        .offset:         72
        .size:           8
        .value_kind:     global_buffer
      - .offset:         80
        .size:           4
        .value_kind:     by_value
      - .address_space:  global
        .offset:         88
        .size:           8
        .value_kind:     global_buffer
      - .address_space:  global
        .offset:         96
        .size:           8
        .value_kind:     global_buffer
    .group_segment_fixed_size: 20240
    .kernarg_segment_align: 8
    .kernarg_segment_size: 104
    .language:       OpenCL C
    .language_version:
      - 2
      - 0
    .max_flat_workgroup_size: 253
    .name:           bluestein_single_back_len55_dim1_dp_op_CI_CI
    .private_segment_fixed_size: 0
    .sgpr_count:     38
    .sgpr_spill_count: 0
    .symbol:         bluestein_single_back_len55_dim1_dp_op_CI_CI.kd
    .uniform_work_group_size: 1
    .uses_dynamic_stack: false
    .vgpr_count:     254
    .vgpr_spill_count: 0
    .wavefront_size: 32
    .workgroup_processor_mode: 1
amdhsa.target:   amdgcn-amd-amdhsa--gfx1030
amdhsa.version:
  - 1
  - 2
...

	.end_amdgpu_metadata
